;; amdgpu-corpus repo=zjin-lcf/HeCBench kind=compiled arch=gfx1250 opt=O3
	.amdgcn_target "amdgcn-amd-amdhsa--gfx1250"
	.amdhsa_code_object_version 6
	.text
	.protected	_Z3attPKiS0_PfS1_S1_S1_S1_iii ; -- Begin function _Z3attPKiS0_PfS1_S1_S1_S1_iii
	.globl	_Z3attPKiS0_PfS1_S1_S1_S1_iii
	.p2align	8
	.type	_Z3attPKiS0_PfS1_S1_S1_S1_iii,@function
_Z3attPKiS0_PfS1_S1_S1_S1_iii:          ; @_Z3attPKiS0_PfS1_S1_S1_S1_iii
; %bb.0:
	s_clause 0x1
	s_load_b32 s2, s[0:1], 0x54
	s_load_b96 s[8:10], s[0:1], 0x38
	s_bfe_u32 s3, ttmp6, 0x4000c
	s_and_b32 s4, ttmp6, 15
	s_add_co_i32 s3, s3, 1
	s_getreg_b32 s5, hwreg(HW_REG_IB_STS2, 6, 4)
	s_mul_i32 s3, ttmp9, s3
	s_delay_alu instid0(SALU_CYCLE_1) | instskip(SKIP_4) | instid1(SALU_CYCLE_1)
	s_add_co_i32 s4, s4, s3
	s_wait_kmcnt 0x0
	s_and_b32 s2, s2, 0xffff
	s_cmp_eq_u32 s5, 0
	s_cselect_b32 s3, ttmp9, s4
	v_mad_u32 v0, s3, s2, v0
	s_mov_b32 s2, exec_lo
	s_delay_alu instid0(VALU_DEP_1)
	v_cmpx_gt_i32_e64 s10, v0
	s_cbranch_execz .LBB0_18
; %bb.1:
	s_clause 0x2
	s_load_b128 s[12:15], s[0:1], 0x0
	s_load_b64 s[4:5], s[0:1], 0x18
	s_load_b64 s[10:11], s[0:1], 0x30
	s_mul_i32 s2, s9, s8
	s_ashr_i32 s7, s9, 31
	s_mov_b32 s6, s9
	s_wait_kmcnt 0x0
	s_clause 0x1
	global_load_b32 v12, v0, s[12:13] scale_offset
	global_load_b32 v4, v0, s[14:15] scale_offset
	s_lshl_b64 s[26:27], s[6:7], 2
	s_wait_loadcnt 0x1
	v_mul_lo_u32 v2, s2, v12
	s_wait_loadcnt 0x0
	v_mul_lo_u32 v0, v4, s9
	s_mov_b32 s2, exec_lo
	s_delay_alu instid0(VALU_DEP_1)
	v_dual_ashrrev_i32 v3, 31, v2 :: v_dual_ashrrev_i32 v1, 31, v0
	v_cmpx_ne_u32_e32 0, v4
	s_xor_b32 s16, exec_lo, s2
	s_cbranch_execz .LBB0_11
; %bb.2:
	v_add_nc_u32_e32 v5, -1, v4
	v_lshl_add_u64 v[8:9], v[2:3], 2, s[4:5]
	s_add_co_i32 s2, s8, -1
	s_delay_alu instid0(SALU_CYCLE_1) | instskip(NEXT) | instid1(VALU_DEP_3)
	v_cmp_ne_u32_e32 vcc_lo, s2, v4
	v_mul_lo_u32 v10, v5, s9
	s_delay_alu instid0(VALU_DEP_3) | instskip(NEXT) | instid1(VALU_DEP_2)
	v_lshl_add_u64 v[6:7], v[0:1], 2, v[8:9]
	v_ashrrev_i32_e32 v11, 31, v10
	s_delay_alu instid0(VALU_DEP_1) | instskip(SKIP_1) | instid1(SALU_CYCLE_1)
	v_lshl_add_u64 v[4:5], v[10:11], 2, v[8:9]
	s_and_saveexec_b32 s2, vcc_lo
	s_xor_b32 s3, exec_lo, s2
	s_cbranch_execz .LBB0_6
; %bb.3:
	s_cmp_lt_i32 s9, 1
	s_cbranch_scc1 .LBB0_6
; %bb.4:
	v_lshl_add_u32 v10, s9, 1, v10
	s_lshl_b64 s[12:13], s[6:7], 3
	s_mov_b64 s[14:15], s[10:11]
	s_mov_b32 s8, s9
	s_delay_alu instid0(VALU_DEP_1) | instskip(NEXT) | instid1(VALU_DEP_1)
	v_ashrrev_i32_e32 v11, 31, v10
	v_lshl_add_u64 v[8:9], v[10:11], 2, v[8:9]
	v_mov_b32_e32 v10, 0
.LBB0_5:                                ; =>This Inner Loop Header: Depth=1
	global_load_b32 v11, v[4:5], off
	global_load_b32 v13, v[8:9], off
	global_load_b32 v14, v[6:7], off
	s_wait_xcnt 0x2
	v_add_nc_u64_e32 v[4:5], 4, v[4:5]
	s_wait_xcnt 0x0
	v_add_nc_u64_e32 v[6:7], 4, v[6:7]
	v_add_nc_u64_e32 v[8:9], 4, v[8:9]
	s_add_co_i32 s8, s8, -1
	s_add_nc_u64 s[18:19], s[14:15], s[26:27]
	s_add_nc_u64 s[20:21], s[14:15], s[12:13]
	s_cmp_lg_u32 s8, 0
	s_wait_loadcnt 0x0
	v_dual_sub_f32 v15, v11, v13 :: v_dual_fmac_f32 v11, -2.0, v14
	s_delay_alu instid0(VALU_DEP_1) | instskip(NEXT) | instid1(VALU_DEP_2)
	v_div_scale_f32 v16, vcc_lo, v15, 0x3e4ccccd, v15
	v_add_f32_e32 v11, v13, v11
	v_div_scale_f32 v13, null, 0x3e4ccccd, 0x3e4ccccd, v15
	s_delay_alu instid0(VALU_DEP_1) | instskip(SKIP_1) | instid1(TRANS32_DEP_1)
	v_rcp_f32_e32 v18, v13
	v_nop
	v_fma_f32 v21, -v13, v18, 1.0
	s_delay_alu instid0(VALU_DEP_1) | instskip(NEXT) | instid1(VALU_DEP_1)
	v_fmac_f32_e32 v18, v21, v18
	v_mul_f32_e32 v21, v16, v18
	v_div_scale_f32 v17, null, 0x3ca3d70b, 0x3ca3d70b, v11
	v_div_scale_f32 v20, s2, v11, 0x3ca3d70b, v11
	s_delay_alu instid0(VALU_DEP_3) | instskip(NEXT) | instid1(VALU_DEP_3)
	v_fma_f32 v23, -v13, v21, v16
	v_rcp_f32_e32 v19, v17
	v_nop
	s_delay_alu instid0(TRANS32_DEP_1) | instskip(NEXT) | instid1(VALU_DEP_1)
	v_fma_f32 v22, -v17, v19, 1.0
	v_fmac_f32_e32 v19, v22, v19
	s_delay_alu instid0(VALU_DEP_1) | instskip(NEXT) | instid1(VALU_DEP_1)
	v_mul_f32_e32 v22, v20, v19
	v_fma_f32 v24, -v17, v22, v20
	s_delay_alu instid0(VALU_DEP_1) | instskip(NEXT) | instid1(VALU_DEP_1)
	v_dual_fmac_f32 v21, v23, v18 :: v_dual_fmac_f32 v22, v24, v19
	v_fma_f32 v13, -v13, v21, v16
	s_delay_alu instid0(VALU_DEP_2) | instskip(NEXT) | instid1(VALU_DEP_2)
	v_fma_f32 v16, -v17, v22, v20
	v_div_fmas_f32 v13, v13, v18, v21
	s_mov_b32 vcc_lo, s2
	s_delay_alu instid0(VALU_DEP_2) | instskip(NEXT) | instid1(VALU_DEP_2)
	v_div_fmas_f32 v16, v16, v19, v22
	v_div_fixup_f32 v13, v13, 0x3e4ccccd, v15
	s_delay_alu instid0(VALU_DEP_2) | instskip(NEXT) | instid1(VALU_DEP_1)
	v_div_fixup_f32 v11, v16, 0x3ca3d70b, v11
	v_dual_fmac_f32 v14, 0x3e99999a, v13 :: v_dual_mul_f32 v15, 0x3e99999a, v11
	v_add_f32_e32 v16, v11, v11
	s_delay_alu instid0(VALU_DEP_1)
	v_dual_fmac_f32 v14, 0x3e99999a, v15 :: v_dual_fmac_f32 v13, 0x3e99999a, v16
	s_clause 0x1
	global_store_b32 v10, v14, s[14:15]
	global_store_b32 v10, v13, s[18:19]
	s_wait_xcnt 0x1
	s_add_nc_u64 s[14:15], s[14:15], 4
	global_store_b32 v10, v11, s[20:21]
	s_cbranch_scc1 .LBB0_5
.LBB0_6:
	s_wait_xcnt 0x0
	s_and_not1_saveexec_b32 s8, s3
	s_cbranch_execz .LBB0_10
; %bb.7:
	s_cmp_lt_i32 s9, 1
	s_cbranch_scc1 .LBB0_10
; %bb.8:
	v_mov_b32_e32 v8, 0
	s_lshl_b64 s[2:3], s[6:7], 3
	s_mov_b64 s[12:13], s[10:11]
	s_mov_b32 s14, s9
.LBB0_9:                                ; =>This Inner Loop Header: Depth=1
	global_load_b32 v9, v[4:5], off
	global_load_b32 v10, v[6:7], off
	s_wait_xcnt 0x1
	v_add_nc_u64_e32 v[4:5], 4, v[4:5]
	s_wait_xcnt 0x0
	v_add_nc_u64_e32 v[6:7], 4, v[6:7]
	s_add_co_i32 s14, s14, -1
	s_add_nc_u64 s[18:19], s[12:13], s[26:27]
	s_add_nc_u64 s[20:21], s[12:13], s[2:3]
	s_cmp_eq_u32 s14, 0
	s_wait_loadcnt 0x0
	v_sub_f32_e32 v9, v10, v9
	s_delay_alu instid0(VALU_DEP_1) | instskip(SKIP_1) | instid1(VALU_DEP_2)
	v_div_scale_f32 v11, null, 0x3dcccccd, 0x3dcccccd, v9
	v_div_scale_f32 v15, vcc_lo, v9, 0x3dcccccd, v9
	v_rcp_f32_e32 v13, v11
	v_nop
	s_delay_alu instid0(TRANS32_DEP_1) | instskip(NEXT) | instid1(VALU_DEP_1)
	v_fma_f32 v14, -v11, v13, 1.0
	v_fmac_f32_e32 v13, v14, v13
	s_delay_alu instid0(VALU_DEP_1) | instskip(NEXT) | instid1(VALU_DEP_1)
	v_mul_f32_e32 v14, v15, v13
	v_fma_f32 v16, -v11, v14, v15
	s_delay_alu instid0(VALU_DEP_1) | instskip(NEXT) | instid1(VALU_DEP_1)
	v_fmac_f32_e32 v14, v16, v13
	v_fma_f32 v11, -v11, v14, v15
	s_delay_alu instid0(VALU_DEP_1) | instskip(NEXT) | instid1(VALU_DEP_1)
	v_div_fmas_f32 v11, v11, v13, v14
	v_div_fixup_f32 v9, v11, 0x3dcccccd, v9
	s_delay_alu instid0(VALU_DEP_1)
	v_fmac_f32_e32 v10, 0x3e99999a, v9
	s_clause 0x1
	global_store_b32 v8, v10, s[12:13]
	global_store_b32 v8, v9, s[18:19]
	s_wait_xcnt 0x1
	s_add_nc_u64 s[12:13], s[12:13], 4
	global_store_b32 v8, v8, s[20:21]
	s_cbranch_scc0 .LBB0_9
.LBB0_10:
	s_wait_xcnt 0x0
	s_or_b32 exec_lo, exec_lo, s8
.LBB0_11:
	s_and_not1_saveexec_b32 s8, s16
	s_cbranch_execz .LBB0_15
; %bb.12:
	s_cmp_lt_i32 s9, 1
	s_cbranch_scc1 .LBB0_15
; %bb.13:
	v_lshlrev_b64_e32 v[4:5], 2, v[0:1]
	v_lshl_add_u64 v[6:7], v[2:3], 2, s[4:5]
	v_mov_b32_e32 v8, 0
	s_lshl_b64 s[2:3], s[6:7], 3
	s_mov_b64 s[4:5], s[10:11]
	s_mov_b32 s6, s9
.LBB0_14:                               ; =>This Inner Loop Header: Depth=1
	s_wait_xcnt 0x1
	v_add_nc_u64_e32 v[10:11], v[6:7], v[4:5]
	v_add_nc_u64_e32 v[14:15], s[26:27], v[6:7]
	v_add_nc_u64_e32 v[6:7], 4, v[6:7]
	s_add_co_i32 s6, s6, -1
	s_add_nc_u64 s[12:13], s[4:5], s[26:27]
	s_wait_xcnt 0x0
	s_add_nc_u64 s[14:15], s[4:5], s[2:3]
	s_cmp_eq_u32 s6, 0
	s_clause 0x1
	global_load_b32 v9, v[10:11], off
	global_load_b32 v13, v[14:15], off
	s_wait_loadcnt 0x0
	s_wait_xcnt 0x1
	v_sub_f32_e32 v10, v13, v9
	s_delay_alu instid0(VALU_DEP_1) | instskip(SKIP_2) | instid1(VALU_DEP_2)
	v_div_scale_f32 v11, null, 0x3dcccccd, 0x3dcccccd, v10
	s_wait_xcnt 0x0
	v_div_scale_f32 v15, vcc_lo, v10, 0x3dcccccd, v10
	v_rcp_f32_e32 v13, v11
	v_nop
	s_delay_alu instid0(TRANS32_DEP_1) | instskip(NEXT) | instid1(VALU_DEP_1)
	v_fma_f32 v14, -v11, v13, 1.0
	v_fmac_f32_e32 v13, v14, v13
	s_delay_alu instid0(VALU_DEP_1) | instskip(NEXT) | instid1(VALU_DEP_1)
	v_mul_f32_e32 v14, v15, v13
	v_fma_f32 v16, -v11, v14, v15
	s_delay_alu instid0(VALU_DEP_1) | instskip(NEXT) | instid1(VALU_DEP_1)
	v_fmac_f32_e32 v14, v16, v13
	v_fma_f32 v11, -v11, v14, v15
	s_delay_alu instid0(VALU_DEP_1) | instskip(NEXT) | instid1(VALU_DEP_1)
	v_div_fmas_f32 v11, v11, v13, v14
	v_div_fixup_f32 v10, v11, 0x3dcccccd, v10
	s_delay_alu instid0(VALU_DEP_1)
	v_fmac_f32_e32 v9, 0x3e99999a, v10
	s_clause 0x1
	global_store_b32 v8, v9, s[4:5]
	global_store_b32 v8, v10, s[12:13]
	s_wait_xcnt 0x1
	s_add_nc_u64 s[4:5], s[4:5], 4
	global_store_b32 v8, v8, s[14:15]
	s_cbranch_scc0 .LBB0_14
.LBB0_15:
	s_wait_xcnt 0x0
	s_or_b32 exec_lo, exec_lo, s8
	s_cmp_lt_i32 s9, 1
	s_cbranch_scc1 .LBB0_18
; %bb.16:
	s_clause 0x1
	s_load_b64 s[2:3], s[0:1], 0x10
	s_load_b128 s[4:7], s[0:1], 0x20
	s_add_nc_u64 s[12:13], s[10:11], s[26:27]
	v_mul_lo_u32 v6, v12, s9
	s_add_nc_u64 s[14:15], s[12:13], s[26:27]
	v_dual_mov_b32 v16, 0 :: v_dual_mov_b32 v4, 1.0
	s_add_nc_u64 s[16:17], s[14:15], s[26:27]
	v_mov_b32_e32 v17, 0xc0400000
	s_add_nc_u64 s[18:19], s[16:17], s[26:27]
	s_mov_b64 s[38:39], 0
	s_add_nc_u64 s[20:21], s[18:19], s[26:27]
	s_delay_alu instid0(SALU_CYCLE_1) | instskip(NEXT) | instid1(VALU_DEP_3)
	s_add_nc_u64 s[22:23], s[20:21], s[26:27]
	v_ashrrev_i32_e32 v7, 31, v6
	s_add_nc_u64 s[24:25], s[22:23], s[26:27]
	s_delay_alu instid0(SALU_CYCLE_1) | instskip(NEXT) | instid1(SALU_CYCLE_1)
	s_add_nc_u64 s[28:29], s[24:25], s[26:27]
	s_add_nc_u64 s[30:31], s[28:29], s[26:27]
	s_wait_kmcnt 0x0
	v_lshl_add_u64 v[8:9], v[2:3], 2, s[2:3]
	s_add_nc_u64 s[34:35], s[30:31], s[26:27]
	v_lshl_add_u64 v[2:3], v[6:7], 2, s[4:5]
	s_add_nc_u64 s[36:37], s[34:35], s[26:27]
	v_mov_b32_e32 v6, 2.0
	v_lshl_add_u64 v[0:1], v[0:1], 2, v[8:9]
	s_add_nc_u64 s[4:5], s[36:37], s[26:27]
	s_delay_alu instid0(SALU_CYCLE_1)
	s_add_nc_u64 s[26:27], s[4:5], s[26:27]
.LBB0_17:                               ; =>This Inner Loop Header: Depth=1
	s_wait_xcnt 0x6
	v_add_nc_u64_e32 v[12:13], s[38:39], v[2:3]
	s_add_nc_u64 s[0:1], s[10:11], s[38:39]
	s_add_nc_u64 s[2:3], s[12:13], s[38:39]
	s_wait_xcnt 0x0
	s_add_nc_u64 s[40:41], s[6:7], s[38:39]
	s_add_nc_u64 s[42:43], s[14:15], s[38:39]
	s_clause 0x1
	global_load_b32 v15, v16, s[0:1]
	global_load_b32 v5, v16, s[2:3]
	global_load_b32 v11, v[12:13], off
	s_clause 0x1
	global_load_b32 v8, v16, s[40:41]
	global_load_b32 v9, v16, s[42:43]
	s_wait_xcnt 0x2
	v_add_nc_u64_e32 v[12:13], s[38:39], v[0:1]
	s_add_co_i32 s9, s9, -1
	s_add_nc_u64 s[46:47], s[16:17], s[38:39]
	s_add_nc_u64 s[48:49], s[18:19], s[38:39]
	s_wait_xcnt 0x0
	s_add_nc_u64 s[42:43], s[20:21], s[38:39]
	s_add_nc_u64 s[54:55], s[22:23], s[38:39]
	;; [unrolled: 1-line block ×3, first 2 shown]
	global_load_b32 v32, v[12:13], off
	s_add_nc_u64 s[52:53], s[28:29], s[38:39]
	s_add_nc_u64 s[44:45], s[30:31], s[38:39]
	;; [unrolled: 1-line block ×7, first 2 shown]
	s_cmp_lg_u32 s9, 0
	s_wait_loadcnt 0x4
	v_dual_mov_b32 v10, v15 :: v_dual_mul_f32 v19, 0x3f666666, v5
	s_wait_loadcnt 0x3
	v_dual_mov_b32 v18, v15 :: v_dual_mov_b32 v21, v11
	s_wait_loadcnt 0x2
	v_dual_mul_f32 v20, 0x3f333333, v11 :: v_dual_mul_f32 v5, v11, v8
	v_dual_fmamk_f32 v14, v11, 0x3f333333, v17 :: v_dual_mov_b32 v7, v11
	v_fma_f32 v33, 0x3f333333, v11, -2.0
	s_delay_alu instid0(VALU_DEP_3) | instskip(SKIP_1) | instid1(VALU_DEP_4)
	v_pk_mul_f32 v[22:23], v[10:11], v[20:21]
	v_mul_f32_e32 v24, 0xbfb8aa3b, v20
	v_fmaak_f32 v27, v20, v14, 0x40c00000
	v_cmp_nlt_f32_e32 vcc_lo, 0x42ce8ed0, v20
	s_delay_alu instid0(VALU_DEP_3) | instskip(SKIP_1) | instid1(VALU_DEP_1)
	v_fma_f32 v10, 0xbfb8aa3b, v20, -v24
	v_rndne_f32_e32 v14, v24
	v_dual_fmac_f32 v10, 0xb2a5705f, v20 :: v_dual_sub_f32 v21, v24, v14
	v_mul_f32_e32 v25, 0x40400000, v23
	v_cvt_i32_f32_e32 v14, v14
	s_delay_alu instid0(VALU_DEP_3) | instskip(NEXT) | instid1(VALU_DEP_1)
	v_add_f32_e32 v10, v21, v10
	v_exp_f32_e32 v10, v10
	v_nop
	s_delay_alu instid0(TRANS32_DEP_1) | instskip(NEXT) | instid1(VALU_DEP_1)
	v_ldexp_f32 v10, v10, v14
	v_cndmask_b32_e32 v10, 0, v10, vcc_lo
	v_cmp_ngt_f32_e32 vcc_lo, 0xc2b17218, v20
	s_delay_alu instid0(VALU_DEP_2) | instskip(NEXT) | instid1(VALU_DEP_1)
	v_cndmask_b32_e32 v14, 0x7f800000, v10, vcc_lo
	v_pk_add_f32 v[14:15], v[4:5], v[14:15] neg_lo:[0,1] neg_hi:[0,1]
	s_delay_alu instid0(VALU_DEP_1) | instskip(SKIP_3) | instid1(VALU_DEP_3)
	v_dual_fma_f32 v10, v14, v15, v22 :: v_dual_mov_b32 v15, v23
	s_wait_loadcnt 0x1
	v_mul_f32_e32 v22, 0x3e99999a, v9
	v_sub_f32_e32 v26, 1.0, v14
	v_pk_mul_f32 v[28:29], v[6:7], v[14:15]
	v_fma_f32 v15, 0x3f333333, v11, -v14
	s_delay_alu instid0(VALU_DEP_2) | instskip(NEXT) | instid1(VALU_DEP_2)
	v_div_scale_f32 v9, null, v29, v29, v28
	v_pk_mul_f32 v[30:31], v[18:19], v[14:15]
	v_div_scale_f32 v21, vcc_lo, v28, v29, v28
	s_delay_alu instid0(VALU_DEP_3) | instskip(NEXT) | instid1(VALU_DEP_2)
	v_rcp_f32_e32 v15, v9
	v_div_scale_f32 v35, null, v23, v23, v31
	s_delay_alu instid0(VALU_DEP_3) | instskip(SKIP_1) | instid1(TRANS32_DEP_1)
	v_div_scale_f32 v37, null, v11, v11, v30
	v_div_scale_f32 v36, s2, v31, v23, v31
	v_fma_f32 v43, -v9, v15, 1.0
	s_delay_alu instid0(VALU_DEP_4) | instskip(NEXT) | instid1(VALU_DEP_3)
	v_rcp_f32_e32 v41, v35
	v_rcp_f32_e32 v42, v37
	v_div_scale_f32 v38, s3, v30, v11, v30
	s_delay_alu instid0(VALU_DEP_2) | instskip(SKIP_1) | instid1(TRANS32_DEP_2)
	v_fmac_f32_e32 v15, v43, v15
	v_mul_f32_e32 v5, 0x40c00000, v14
	v_fma_f32 v43, -v35, v41, 1.0
	s_delay_alu instid0(TRANS32_DEP_1) | instskip(NEXT) | instid1(VALU_DEP_4)
	v_fma_f32 v44, -v37, v42, 1.0
	v_mul_f32_e32 v46, v21, v15
	s_delay_alu instid0(VALU_DEP_4) | instskip(SKIP_1) | instid1(VALU_DEP_4)
	v_fma_f32 v24, v20, v27, -v5
	v_div_scale_f32 v5, null, v23, v23, v10
	v_dual_mov_b32 v27, v22 :: v_dual_fmac_f32 v42, v44, v42
	s_delay_alu instid0(VALU_DEP_3) | instskip(NEXT) | instid1(VALU_DEP_3)
	v_pk_mul_f32 v[24:25], v[24:25], v[22:23]
	v_rcp_f32_e32 v22, v5
	s_delay_alu instid0(VALU_DEP_2) | instskip(NEXT) | instid1(VALU_DEP_2)
	v_dual_fmac_f32 v41, v43, v41 :: v_dual_mul_f32 v48, v38, v42
	v_div_scale_f32 v18, null, v25, v25, v24
	v_div_scale_f32 v34, s1, v24, v25, v24
	s_delay_alu instid0(TRANS32_DEP_1) | instskip(NEXT) | instid1(VALU_DEP_3)
	v_fma_f32 v39, -v5, v22, 1.0
	v_rcp_f32_e32 v40, v18
	v_dual_fma_f32 v43, -v9, v46, v21 :: v_dual_mul_f32 v47, v36, v41
	v_fma_f32 v49, -v37, v48, v38
	s_delay_alu instid0(VALU_DEP_3) | instskip(SKIP_1) | instid1(TRANS32_DEP_1)
	v_fmac_f32_e32 v22, v39, v22
	v_div_scale_f32 v7, s0, v10, v23, v10
	v_fma_f32 v39, -v18, v40, 1.0
	v_fmac_f32_e32 v46, v43, v15
	v_fma_f32 v43, -v35, v47, v36
	s_delay_alu instid0(VALU_DEP_3) | instskip(SKIP_1) | instid1(VALU_DEP_2)
	v_fmac_f32_e32 v40, v39, v40
	v_mul_f32_e32 v45, v7, v22
	v_dual_fmac_f32 v47, v43, v41 :: v_dual_mul_f32 v44, v34, v40
	s_delay_alu instid0(VALU_DEP_2) | instskip(NEXT) | instid1(VALU_DEP_1)
	v_fma_f32 v39, -v5, v45, v7
	v_dual_fmac_f32 v45, v39, v22 :: v_dual_fma_f32 v39, -v18, v44, v34
	s_delay_alu instid0(VALU_DEP_1) | instskip(SKIP_2) | instid1(VALU_DEP_2)
	v_dual_fma_f32 v5, -v5, v45, v7 :: v_dual_fmac_f32 v44, v39, v40
	v_fma_f32 v7, -v9, v46, v21
	v_fmac_f32_e32 v48, v49, v42
	v_div_fmas_f32 v7, v7, v15, v46
	s_delay_alu instid0(VALU_DEP_4) | instskip(SKIP_1) | instid1(VALU_DEP_3)
	v_fma_f32 v15, -v18, v44, v34
	s_mov_b32 vcc_lo, s0
	v_dual_fma_f32 v18, -v35, v47, v36 :: v_dual_fma_f32 v21, -v37, v48, v38
	v_div_fmas_f32 v5, v5, v22, v45
	s_mov_b32 vcc_lo, s1
	v_div_fixup_f32 v9, v7, v29, v28
	v_div_fmas_f32 v7, v15, v40, v44
	s_mov_b32 vcc_lo, s2
	v_div_fixup_f32 v5, v5, v23, v10
	;; [unrolled: 3-line block ×3, first 2 shown]
	v_div_fmas_f32 v15, v21, v42, v48
	s_delay_alu instid0(VALU_DEP_3) | instskip(NEXT) | instid1(VALU_DEP_2)
	v_div_fixup_f32 v10, v10, v23, v31
	v_div_fixup_f32 v15, v15, v11, v30
	v_fmac_f32_e32 v9, v20, v33
	s_delay_alu instid0(VALU_DEP_1) | instskip(SKIP_1) | instid1(VALU_DEP_2)
	v_fmac_f32_e32 v5, v9, v19
	v_pk_mul_f32 v[18:19], v[8:9], v[26:27]
	v_dual_add_f32 v8, v15, v10 :: v_dual_add_f32 v5, v5, v7
	s_delay_alu instid0(VALU_DEP_1) | instskip(NEXT) | instid1(VALU_DEP_1)
	v_add_f32_e32 v7, v8, v19
	v_dual_add_f32 v7, v18, v7 :: v_dual_mul_f32 v8, 0.5, v5
	s_wait_loadcnt 0x0
	v_fmac_f32_e32 v32, 0.5, v5
	s_clause 0x5
	global_store_b32 v16, v11, s[46:47]
	global_store_b32 v16, v20, s[48:49]
	;; [unrolled: 1-line block ×6, first 2 shown]
	global_store_b32 v[12:13], v32, off
	s_clause 0x5
	global_store_b32 v16, v8, s[44:45]
	global_store_b32 v16, v15, s[56:57]
	;; [unrolled: 1-line block ×6, first 2 shown]
	s_cbranch_scc1 .LBB0_17
.LBB0_18:
	s_endpgm
	.section	.rodata,"a",@progbits
	.p2align	6, 0x0
	.amdhsa_kernel _Z3attPKiS0_PfS1_S1_S1_S1_iii
		.amdhsa_group_segment_fixed_size 0
		.amdhsa_private_segment_fixed_size 0
		.amdhsa_kernarg_size 328
		.amdhsa_user_sgpr_count 2
		.amdhsa_user_sgpr_dispatch_ptr 0
		.amdhsa_user_sgpr_queue_ptr 0
		.amdhsa_user_sgpr_kernarg_segment_ptr 1
		.amdhsa_user_sgpr_dispatch_id 0
		.amdhsa_user_sgpr_kernarg_preload_length 0
		.amdhsa_user_sgpr_kernarg_preload_offset 0
		.amdhsa_user_sgpr_private_segment_size 0
		.amdhsa_wavefront_size32 1
		.amdhsa_uses_dynamic_stack 0
		.amdhsa_enable_private_segment 0
		.amdhsa_system_sgpr_workgroup_id_x 1
		.amdhsa_system_sgpr_workgroup_id_y 0
		.amdhsa_system_sgpr_workgroup_id_z 0
		.amdhsa_system_sgpr_workgroup_info 0
		.amdhsa_system_vgpr_workitem_id 0
		.amdhsa_next_free_vgpr 50
		.amdhsa_next_free_sgpr 64
		.amdhsa_named_barrier_count 0
		.amdhsa_reserve_vcc 1
		.amdhsa_float_round_mode_32 0
		.amdhsa_float_round_mode_16_64 0
		.amdhsa_float_denorm_mode_32 3
		.amdhsa_float_denorm_mode_16_64 3
		.amdhsa_fp16_overflow 0
		.amdhsa_memory_ordered 1
		.amdhsa_forward_progress 1
		.amdhsa_inst_pref_size 21
		.amdhsa_round_robin_scheduling 0
		.amdhsa_exception_fp_ieee_invalid_op 0
		.amdhsa_exception_fp_denorm_src 0
		.amdhsa_exception_fp_ieee_div_zero 0
		.amdhsa_exception_fp_ieee_overflow 0
		.amdhsa_exception_fp_ieee_underflow 0
		.amdhsa_exception_fp_ieee_inexact 0
		.amdhsa_exception_int_div_zero 0
	.end_amdhsa_kernel
	.text
.Lfunc_end0:
	.size	_Z3attPKiS0_PfS1_S1_S1_S1_iii, .Lfunc_end0-_Z3attPKiS0_PfS1_S1_S1_S1_iii
                                        ; -- End function
	.set _Z3attPKiS0_PfS1_S1_S1_S1_iii.num_vgpr, 50
	.set _Z3attPKiS0_PfS1_S1_S1_S1_iii.num_agpr, 0
	.set _Z3attPKiS0_PfS1_S1_S1_S1_iii.numbered_sgpr, 64
	.set _Z3attPKiS0_PfS1_S1_S1_S1_iii.num_named_barrier, 0
	.set _Z3attPKiS0_PfS1_S1_S1_S1_iii.private_seg_size, 0
	.set _Z3attPKiS0_PfS1_S1_S1_S1_iii.uses_vcc, 1
	.set _Z3attPKiS0_PfS1_S1_S1_S1_iii.uses_flat_scratch, 0
	.set _Z3attPKiS0_PfS1_S1_S1_S1_iii.has_dyn_sized_stack, 0
	.set _Z3attPKiS0_PfS1_S1_S1_S1_iii.has_recursion, 0
	.set _Z3attPKiS0_PfS1_S1_S1_S1_iii.has_indirect_call, 0
	.section	.AMDGPU.csdata,"",@progbits
; Kernel info:
; codeLenInByte = 2624
; TotalNumSgprs: 66
; NumVgprs: 50
; ScratchSize: 0
; MemoryBound: 0
; FloatMode: 240
; IeeeMode: 1
; LDSByteSize: 0 bytes/workgroup (compile time only)
; SGPRBlocks: 0
; VGPRBlocks: 3
; NumSGPRsForWavesPerEU: 66
; NumVGPRsForWavesPerEU: 50
; NamedBarCnt: 0
; Occupancy: 16
; WaveLimiterHint : 1
; COMPUTE_PGM_RSRC2:SCRATCH_EN: 0
; COMPUTE_PGM_RSRC2:USER_SGPR: 2
; COMPUTE_PGM_RSRC2:TRAP_HANDLER: 0
; COMPUTE_PGM_RSRC2:TGID_X_EN: 1
; COMPUTE_PGM_RSRC2:TGID_Y_EN: 0
; COMPUTE_PGM_RSRC2:TGID_Z_EN: 0
; COMPUTE_PGM_RSRC2:TIDIG_COMP_CNT: 0
	.text
	.p2alignl 7, 3214868480
	.fill 96, 4, 3214868480
	.section	.AMDGPU.gpr_maximums,"",@progbits
	.set amdgpu.max_num_vgpr, 0
	.set amdgpu.max_num_agpr, 0
	.set amdgpu.max_num_sgpr, 0
	.text
	.type	__hip_cuid_32758a576a519d76,@object ; @__hip_cuid_32758a576a519d76
	.section	.bss,"aw",@nobits
	.globl	__hip_cuid_32758a576a519d76
__hip_cuid_32758a576a519d76:
	.byte	0                               ; 0x0
	.size	__hip_cuid_32758a576a519d76, 1

	.ident	"AMD clang version 22.0.0git (https://github.com/RadeonOpenCompute/llvm-project roc-7.2.4 26084 f58b06dce1f9c15707c5f808fd002e18c2accf7e)"
	.section	".note.GNU-stack","",@progbits
	.addrsig
	.addrsig_sym __hip_cuid_32758a576a519d76
	.amdgpu_metadata
---
amdhsa.kernels:
  - .args:
      - .actual_access:  read_only
        .address_space:  global
        .offset:         0
        .size:           8
        .value_kind:     global_buffer
      - .actual_access:  read_only
        .address_space:  global
        .offset:         8
        .size:           8
        .value_kind:     global_buffer
      - .address_space:  global
        .offset:         16
        .size:           8
        .value_kind:     global_buffer
      - .actual_access:  read_only
        .address_space:  global
        .offset:         24
        .size:           8
        .value_kind:     global_buffer
      - .actual_access:  read_only
        .address_space:  global
        .offset:         32
        .size:           8
        .value_kind:     global_buffer
      - .address_space:  global
        .offset:         40
        .size:           8
        .value_kind:     global_buffer
      - .address_space:  global
        .offset:         48
        .size:           8
        .value_kind:     global_buffer
      - .offset:         56
        .size:           4
        .value_kind:     by_value
      - .offset:         60
        .size:           4
        .value_kind:     by_value
      - .offset:         64
        .size:           4
        .value_kind:     by_value
      - .offset:         72
        .size:           4
        .value_kind:     hidden_block_count_x
      - .offset:         76
        .size:           4
        .value_kind:     hidden_block_count_y
      - .offset:         80
        .size:           4
        .value_kind:     hidden_block_count_z
      - .offset:         84
        .size:           2
        .value_kind:     hidden_group_size_x
      - .offset:         86
        .size:           2
        .value_kind:     hidden_group_size_y
      - .offset:         88
        .size:           2
        .value_kind:     hidden_group_size_z
      - .offset:         90
        .size:           2
        .value_kind:     hidden_remainder_x
      - .offset:         92
        .size:           2
        .value_kind:     hidden_remainder_y
      - .offset:         94
        .size:           2
        .value_kind:     hidden_remainder_z
      - .offset:         112
        .size:           8
        .value_kind:     hidden_global_offset_x
      - .offset:         120
        .size:           8
        .value_kind:     hidden_global_offset_y
      - .offset:         128
        .size:           8
        .value_kind:     hidden_global_offset_z
      - .offset:         136
        .size:           2
        .value_kind:     hidden_grid_dims
    .group_segment_fixed_size: 0
    .kernarg_segment_align: 8
    .kernarg_segment_size: 328
    .language:       OpenCL C
    .language_version:
      - 2
      - 0
    .max_flat_workgroup_size: 1024
    .name:           _Z3attPKiS0_PfS1_S1_S1_S1_iii
    .private_segment_fixed_size: 0
    .sgpr_count:     66
    .sgpr_spill_count: 0
    .symbol:         _Z3attPKiS0_PfS1_S1_S1_S1_iii.kd
    .uniform_work_group_size: 1
    .uses_dynamic_stack: false
    .vgpr_count:     50
    .vgpr_spill_count: 0
    .wavefront_size: 32
amdhsa.target:   amdgcn-amd-amdhsa--gfx1250
amdhsa.version:
  - 1
  - 2
...

	.end_amdgpu_metadata
